;; amdgpu-corpus repo=ROCm/rocFFT kind=compiled arch=gfx1030 opt=O3
	.text
	.amdgcn_target "amdgcn-amd-amdhsa--gfx1030"
	.amdhsa_code_object_version 6
	.protected	fft_rtc_back_len728_factors_13_7_8_wgs_104_tpt_104_halfLds_sp_op_CI_CI_sbrr_dirReg ; -- Begin function fft_rtc_back_len728_factors_13_7_8_wgs_104_tpt_104_halfLds_sp_op_CI_CI_sbrr_dirReg
	.globl	fft_rtc_back_len728_factors_13_7_8_wgs_104_tpt_104_halfLds_sp_op_CI_CI_sbrr_dirReg
	.p2align	8
	.type	fft_rtc_back_len728_factors_13_7_8_wgs_104_tpt_104_halfLds_sp_op_CI_CI_sbrr_dirReg,@function
fft_rtc_back_len728_factors_13_7_8_wgs_104_tpt_104_halfLds_sp_op_CI_CI_sbrr_dirReg: ; @fft_rtc_back_len728_factors_13_7_8_wgs_104_tpt_104_halfLds_sp_op_CI_CI_sbrr_dirReg
; %bb.0:
	s_clause 0x2
	s_load_dwordx4 s[16:19], s[4:5], 0x18
	s_load_dwordx4 s[8:11], s[4:5], 0x0
	;; [unrolled: 1-line block ×3, first 2 shown]
	v_mul_u32_u24_e32 v1, 0x277, v0
	v_mov_b32_e32 v7, 0
	v_mov_b32_e32 v5, 0
	;; [unrolled: 1-line block ×3, first 2 shown]
	s_waitcnt lgkmcnt(0)
	s_load_dwordx2 s[20:21], s[16:17], 0x0
	s_load_dwordx2 s[2:3], s[18:19], 0x0
	v_cmp_lt_u64_e64 s0, s[10:11], 2
	v_add_nc_u32_sdwa v9, s6, v1 dst_sel:DWORD dst_unused:UNUSED_PAD src0_sel:DWORD src1_sel:WORD_1
	v_mov_b32_e32 v10, v7
	s_and_b32 vcc_lo, exec_lo, s0
	s_cbranch_vccnz .LBB0_8
; %bb.1:
	s_load_dwordx2 s[0:1], s[4:5], 0x10
	v_mov_b32_e32 v5, 0
	v_mov_b32_e32 v6, 0
	s_add_u32 s6, s18, 8
	s_addc_u32 s7, s19, 0
	v_mov_b32_e32 v1, v5
	s_add_u32 s22, s16, 8
	v_mov_b32_e32 v2, v6
	s_addc_u32 s23, s17, 0
	s_mov_b64 s[26:27], 1
	s_waitcnt lgkmcnt(0)
	s_add_u32 s24, s0, 8
	s_addc_u32 s25, s1, 0
.LBB0_2:                                ; =>This Inner Loop Header: Depth=1
	s_load_dwordx2 s[28:29], s[24:25], 0x0
                                        ; implicit-def: $vgpr3_vgpr4
	s_mov_b32 s0, exec_lo
	s_waitcnt lgkmcnt(0)
	v_or_b32_e32 v8, s29, v10
	v_cmpx_ne_u64_e32 0, v[7:8]
	s_xor_b32 s1, exec_lo, s0
	s_cbranch_execz .LBB0_4
; %bb.3:                                ;   in Loop: Header=BB0_2 Depth=1
	v_cvt_f32_u32_e32 v3, s28
	v_cvt_f32_u32_e32 v4, s29
	s_sub_u32 s0, 0, s28
	s_subb_u32 s30, 0, s29
	v_fmac_f32_e32 v3, 0x4f800000, v4
	v_rcp_f32_e32 v3, v3
	v_mul_f32_e32 v3, 0x5f7ffffc, v3
	v_mul_f32_e32 v4, 0x2f800000, v3
	v_trunc_f32_e32 v4, v4
	v_fmac_f32_e32 v3, 0xcf800000, v4
	v_cvt_u32_f32_e32 v4, v4
	v_cvt_u32_f32_e32 v3, v3
	v_mul_lo_u32 v8, s0, v4
	v_mul_hi_u32 v11, s0, v3
	v_mul_lo_u32 v12, s30, v3
	v_add_nc_u32_e32 v8, v11, v8
	v_mul_lo_u32 v11, s0, v3
	v_add_nc_u32_e32 v8, v8, v12
	v_mul_hi_u32 v12, v3, v11
	v_mul_lo_u32 v13, v3, v8
	v_mul_hi_u32 v14, v3, v8
	v_mul_hi_u32 v15, v4, v11
	v_mul_lo_u32 v11, v4, v11
	v_mul_hi_u32 v16, v4, v8
	v_mul_lo_u32 v8, v4, v8
	v_add_co_u32 v12, vcc_lo, v12, v13
	v_add_co_ci_u32_e32 v13, vcc_lo, 0, v14, vcc_lo
	v_add_co_u32 v11, vcc_lo, v12, v11
	v_add_co_ci_u32_e32 v11, vcc_lo, v13, v15, vcc_lo
	v_add_co_ci_u32_e32 v12, vcc_lo, 0, v16, vcc_lo
	v_add_co_u32 v8, vcc_lo, v11, v8
	v_add_co_ci_u32_e32 v11, vcc_lo, 0, v12, vcc_lo
	v_add_co_u32 v3, vcc_lo, v3, v8
	v_add_co_ci_u32_e32 v4, vcc_lo, v4, v11, vcc_lo
	v_mul_hi_u32 v8, s0, v3
	v_mul_lo_u32 v12, s30, v3
	v_mul_lo_u32 v11, s0, v4
	v_add_nc_u32_e32 v8, v8, v11
	v_mul_lo_u32 v11, s0, v3
	v_add_nc_u32_e32 v8, v8, v12
	v_mul_hi_u32 v12, v3, v11
	v_mul_lo_u32 v13, v3, v8
	v_mul_hi_u32 v14, v3, v8
	v_mul_hi_u32 v15, v4, v11
	v_mul_lo_u32 v11, v4, v11
	v_mul_hi_u32 v16, v4, v8
	v_mul_lo_u32 v8, v4, v8
	v_add_co_u32 v12, vcc_lo, v12, v13
	v_add_co_ci_u32_e32 v13, vcc_lo, 0, v14, vcc_lo
	v_add_co_u32 v11, vcc_lo, v12, v11
	v_add_co_ci_u32_e32 v11, vcc_lo, v13, v15, vcc_lo
	v_add_co_ci_u32_e32 v12, vcc_lo, 0, v16, vcc_lo
	v_add_co_u32 v8, vcc_lo, v11, v8
	v_add_co_ci_u32_e32 v11, vcc_lo, 0, v12, vcc_lo
	v_add_co_u32 v8, vcc_lo, v3, v8
	v_add_co_ci_u32_e32 v13, vcc_lo, v4, v11, vcc_lo
	v_mul_hi_u32 v15, v9, v8
	v_mad_u64_u32 v[11:12], null, v10, v8, 0
	v_mad_u64_u32 v[3:4], null, v9, v13, 0
	v_mad_u64_u32 v[13:14], null, v10, v13, 0
	v_add_co_u32 v3, vcc_lo, v15, v3
	v_add_co_ci_u32_e32 v4, vcc_lo, 0, v4, vcc_lo
	v_add_co_u32 v3, vcc_lo, v3, v11
	v_add_co_ci_u32_e32 v3, vcc_lo, v4, v12, vcc_lo
	v_add_co_ci_u32_e32 v4, vcc_lo, 0, v14, vcc_lo
	v_add_co_u32 v8, vcc_lo, v3, v13
	v_add_co_ci_u32_e32 v11, vcc_lo, 0, v4, vcc_lo
	v_mul_lo_u32 v12, s29, v8
	v_mad_u64_u32 v[3:4], null, s28, v8, 0
	v_mul_lo_u32 v13, s28, v11
	v_sub_co_u32 v3, vcc_lo, v9, v3
	v_add3_u32 v4, v4, v13, v12
	v_sub_nc_u32_e32 v12, v10, v4
	v_subrev_co_ci_u32_e64 v12, s0, s29, v12, vcc_lo
	v_add_co_u32 v13, s0, v8, 2
	v_add_co_ci_u32_e64 v14, s0, 0, v11, s0
	v_sub_co_u32 v15, s0, v3, s28
	v_sub_co_ci_u32_e32 v4, vcc_lo, v10, v4, vcc_lo
	v_subrev_co_ci_u32_e64 v12, s0, 0, v12, s0
	v_cmp_le_u32_e32 vcc_lo, s28, v15
	v_cmp_eq_u32_e64 s0, s29, v4
	v_cndmask_b32_e64 v15, 0, -1, vcc_lo
	v_cmp_le_u32_e32 vcc_lo, s29, v12
	v_cndmask_b32_e64 v16, 0, -1, vcc_lo
	v_cmp_le_u32_e32 vcc_lo, s28, v3
	;; [unrolled: 2-line block ×3, first 2 shown]
	v_cndmask_b32_e64 v17, 0, -1, vcc_lo
	v_cmp_eq_u32_e32 vcc_lo, s29, v12
	v_cndmask_b32_e64 v3, v17, v3, s0
	v_cndmask_b32_e32 v12, v16, v15, vcc_lo
	v_add_co_u32 v15, vcc_lo, v8, 1
	v_add_co_ci_u32_e32 v16, vcc_lo, 0, v11, vcc_lo
	v_cmp_ne_u32_e32 vcc_lo, 0, v12
	v_cndmask_b32_e32 v4, v16, v14, vcc_lo
	v_cndmask_b32_e32 v12, v15, v13, vcc_lo
	v_cmp_ne_u32_e32 vcc_lo, 0, v3
	v_cndmask_b32_e32 v4, v11, v4, vcc_lo
	v_cndmask_b32_e32 v3, v8, v12, vcc_lo
.LBB0_4:                                ;   in Loop: Header=BB0_2 Depth=1
	s_andn2_saveexec_b32 s0, s1
	s_cbranch_execz .LBB0_6
; %bb.5:                                ;   in Loop: Header=BB0_2 Depth=1
	v_cvt_f32_u32_e32 v3, s28
	s_sub_i32 s1, 0, s28
	v_rcp_iflag_f32_e32 v3, v3
	v_mul_f32_e32 v3, 0x4f7ffffe, v3
	v_cvt_u32_f32_e32 v3, v3
	v_mul_lo_u32 v4, s1, v3
	v_mul_hi_u32 v4, v3, v4
	v_add_nc_u32_e32 v3, v3, v4
	v_mul_hi_u32 v3, v9, v3
	v_mul_lo_u32 v4, v3, s28
	v_add_nc_u32_e32 v8, 1, v3
	v_sub_nc_u32_e32 v4, v9, v4
	v_subrev_nc_u32_e32 v11, s28, v4
	v_cmp_le_u32_e32 vcc_lo, s28, v4
	v_cndmask_b32_e32 v4, v4, v11, vcc_lo
	v_cndmask_b32_e32 v3, v3, v8, vcc_lo
	v_cmp_le_u32_e32 vcc_lo, s28, v4
	v_add_nc_u32_e32 v8, 1, v3
	v_mov_b32_e32 v4, v7
	v_cndmask_b32_e32 v3, v3, v8, vcc_lo
.LBB0_6:                                ;   in Loop: Header=BB0_2 Depth=1
	s_or_b32 exec_lo, exec_lo, s0
	v_mul_lo_u32 v8, v4, s28
	v_mul_lo_u32 v13, v3, s29
	s_load_dwordx2 s[0:1], s[22:23], 0x0
	v_mad_u64_u32 v[11:12], null, v3, s28, 0
	s_load_dwordx2 s[28:29], s[6:7], 0x0
	s_add_u32 s26, s26, 1
	s_addc_u32 s27, s27, 0
	s_add_u32 s6, s6, 8
	s_addc_u32 s7, s7, 0
	s_add_u32 s22, s22, 8
	v_add3_u32 v8, v12, v13, v8
	v_sub_co_u32 v9, vcc_lo, v9, v11
	s_addc_u32 s23, s23, 0
	s_add_u32 s24, s24, 8
	v_sub_co_ci_u32_e32 v8, vcc_lo, v10, v8, vcc_lo
	s_addc_u32 s25, s25, 0
	s_waitcnt lgkmcnt(0)
	v_mul_lo_u32 v10, s0, v8
	v_mul_lo_u32 v11, s1, v9
	v_mad_u64_u32 v[5:6], null, s0, v9, v[5:6]
	v_mul_lo_u32 v8, s28, v8
	v_mul_lo_u32 v12, s29, v9
	v_mad_u64_u32 v[1:2], null, s28, v9, v[1:2]
	v_cmp_ge_u64_e64 s0, s[26:27], s[10:11]
	v_add3_u32 v6, v11, v6, v10
	v_add3_u32 v2, v12, v2, v8
	s_and_b32 vcc_lo, exec_lo, s0
	s_cbranch_vccnz .LBB0_9
; %bb.7:                                ;   in Loop: Header=BB0_2 Depth=1
	v_mov_b32_e32 v10, v4
	v_mov_b32_e32 v9, v3
	s_branch .LBB0_2
.LBB0_8:
	v_mov_b32_e32 v1, v5
	v_mov_b32_e32 v3, v9
	;; [unrolled: 1-line block ×4, first 2 shown]
.LBB0_9:
	s_load_dwordx2 s[0:1], s[4:5], 0x28
	v_mul_hi_u32 v7, 0x2762763, v0
	s_lshl_b64 s[6:7], s[10:11], 3
	v_mov_b32_e32 v9, 0
	v_mov_b32_e32 v8, 0
	s_add_u32 s4, s18, s6
	s_addc_u32 s5, s19, s7
                                        ; implicit-def: $vgpr15
                                        ; implicit-def: $vgpr13
                                        ; implicit-def: $vgpr11
                                        ; implicit-def: $vgpr29
                                        ; implicit-def: $vgpr19
                                        ; implicit-def: $vgpr17
                                        ; implicit-def: $vgpr21
                                        ; implicit-def: $vgpr25
                                        ; implicit-def: $vgpr27
                                        ; implicit-def: $vgpr31
                                        ; implicit-def: $vgpr33
                                        ; implicit-def: $vgpr23
	v_mul_u32_u24_e32 v7, 0x68, v7
	v_sub_nc_u32_e32 v0, v0, v7
	s_waitcnt lgkmcnt(0)
	v_cmp_gt_u64_e32 vcc_lo, s[0:1], v[3:4]
	v_cmp_gt_u32_e64 s0, 56, v0
	s_and_b32 s1, vcc_lo, s0
	s_and_saveexec_b32 s10, s1
	s_cbranch_execz .LBB0_11
; %bb.10:
	s_add_u32 s6, s16, s6
	s_addc_u32 s7, s17, s7
	v_add_nc_u32_e32 v20, 56, v0
	s_load_dwordx2 s[6:7], s[6:7], 0x0
	v_add_nc_u32_e32 v22, 0x70, v0
	v_mad_u64_u32 v[7:8], null, s20, v0, 0
	v_add_nc_u32_e32 v23, 0xa8, v0
	v_mad_u64_u32 v[9:10], null, s20, v20, 0
	v_mad_u64_u32 v[11:12], null, s20, v22, 0
	;; [unrolled: 1-line block ×3, first 2 shown]
	v_add_nc_u32_e32 v24, 0xe0, v0
	v_lshlrev_b64 v[5:6], 3, v[5:6]
	v_mad_u64_u32 v[17:18], null, s21, v0, v[8:9]
	v_mov_b32_e32 v8, v10
	v_mov_b32_e32 v10, v12
	;; [unrolled: 1-line block ×3, first 2 shown]
	v_mad_u64_u32 v[18:19], null, s20, v24, 0
	s_waitcnt lgkmcnt(0)
	v_mul_lo_u32 v21, s7, v3
	v_mul_lo_u32 v25, s6, v4
	v_mad_u64_u32 v[15:16], null, s6, v3, 0
	v_add_nc_u32_e32 v26, 0x150, v0
	v_add_nc_u32_e32 v28, 0x1f8, v0
	;; [unrolled: 1-line block ×5, first 2 shown]
	v_add3_u32 v16, v16, v25, v21
	v_mad_u64_u32 v[20:21], null, s21, v20, v[8:9]
	v_mad_u64_u32 v[21:22], null, s21, v22, v[10:11]
	v_lshlrev_b64 v[14:15], 3, v[15:16]
	v_mov_b32_e32 v8, v17
	v_mad_u64_u32 v[16:17], null, s21, v23, v[12:13]
	v_mov_b32_e32 v10, v20
	v_add_nc_u32_e32 v25, 0x118, v0
	v_add_co_u32 v14, s1, s12, v14
	v_add_co_ci_u32_e64 v15, s1, s13, v15, s1
	v_lshlrev_b64 v[7:8], 3, v[7:8]
	v_mov_b32_e32 v12, v21
	v_add_co_u32 v37, s1, v14, v5
	v_add_co_ci_u32_e64 v38, s1, v15, v6, s1
	v_lshlrev_b64 v[5:6], 3, v[9:10]
	v_mov_b32_e32 v14, v16
	v_lshlrev_b64 v[10:11], 3, v[11:12]
	v_add_co_u32 v7, s1, v37, v7
	v_mov_b32_e32 v9, v19
	v_mad_u64_u32 v[16:17], null, s20, v25, 0
	v_add_co_ci_u32_e64 v8, s1, v38, v8, s1
	v_add_co_u32 v5, s1, v37, v5
	v_lshlrev_b64 v[12:13], 3, v[13:14]
	v_add_co_ci_u32_e64 v6, s1, v38, v6, s1
	v_mad_u64_u32 v[14:15], null, s21, v24, v[9:10]
	v_add_co_u32 v10, s1, v37, v10
	v_add_co_ci_u32_e64 v11, s1, v38, v11, s1
	v_mov_b32_e32 v9, v17
	v_add_co_u32 v20, s1, v37, v12
	v_add_co_ci_u32_e64 v21, s1, v38, v13, s1
	v_mov_b32_e32 v19, v14
	v_mad_u64_u32 v[24:25], null, s21, v25, v[9:10]
	s_clause 0x3
	global_load_dwordx2 v[8:9], v[7:8], off
	global_load_dwordx2 v[14:15], v[5:6], off
	global_load_dwordx2 v[12:13], v[10:11], off
	global_load_dwordx2 v[10:11], v[20:21], off
	v_mad_u64_u32 v[22:23], null, s20, v26, 0
	v_add_nc_u32_e32 v25, 0x188, v0
	v_lshlrev_b64 v[5:6], 3, v[18:19]
	v_mad_u64_u32 v[30:31], null, s20, v29, 0
	v_mov_b32_e32 v17, v24
	v_mad_u64_u32 v[18:19], null, s20, v25, 0
	v_mov_b32_e32 v7, v23
	v_add_co_u32 v5, s1, v37, v5
	v_lshlrev_b64 v[16:17], 3, v[16:17]
	v_add_co_ci_u32_e64 v6, s1, v38, v6, s1
	v_add_co_u32 v16, s1, v37, v16
	v_add_co_ci_u32_e64 v17, s1, v38, v17, s1
	s_waitcnt vmcnt(3)
	v_mad_u64_u32 v[20:21], null, s21, v26, v[7:8]
	v_mov_b32_e32 v7, v19
	v_or_b32_e32 v26, 0x1c0, v0
	v_mov_b32_e32 v23, v20
	v_mad_u64_u32 v[19:20], null, s21, v25, v[7:8]
	v_mad_u64_u32 v[20:21], null, s20, v26, 0
	v_mad_u64_u32 v[24:25], null, s20, v28, 0
	v_lshlrev_b64 v[22:23], 3, v[22:23]
	v_lshlrev_b64 v[18:19], 3, v[18:19]
	v_mov_b32_e32 v7, v21
	v_add_co_u32 v22, s1, v37, v22
	v_add_co_ci_u32_e64 v23, s1, v38, v23, s1
	v_mad_u64_u32 v[26:27], null, s21, v26, v[7:8]
	v_mov_b32_e32 v7, v25
	v_add_co_u32 v32, s1, v37, v18
	v_add_co_ci_u32_e64 v33, s1, v38, v19, s1
	v_mov_b32_e32 v21, v26
	v_mad_u64_u32 v[25:26], null, s21, v28, v[7:8]
	v_mov_b32_e32 v7, v31
	v_mad_u64_u32 v[26:27], null, s20, v39, 0
	v_mad_u64_u32 v[34:35], null, s21, v29, v[7:8]
	;; [unrolled: 1-line block ×3, first 2 shown]
	s_clause 0x3
	global_load_dwordx2 v[28:29], v[5:6], off
	global_load_dwordx2 v[18:19], v[16:17], off
	;; [unrolled: 1-line block ×4, first 2 shown]
	v_lshlrev_b64 v[6:7], 3, v[20:21]
	v_mov_b32_e32 v5, v27
	v_lshlrev_b64 v[24:25], 3, v[24:25]
	v_mov_b32_e32 v31, v34
	v_mad_u64_u32 v[20:21], null, s21, v39, v[5:6]
	v_mov_b32_e32 v5, v36
	v_add_co_u32 v6, s1, v37, v6
	v_lshlrev_b64 v[30:31], 3, v[30:31]
	v_add_co_ci_u32_e64 v7, s1, v38, v7, s1
	v_mad_u64_u32 v[32:33], null, s21, v40, v[5:6]
	v_mov_b32_e32 v27, v20
	v_add_co_u32 v20, s1, v37, v24
	v_add_co_ci_u32_e64 v21, s1, v38, v25, s1
	v_lshlrev_b64 v[24:25], 3, v[26:27]
	v_mov_b32_e32 v36, v32
	v_add_co_u32 v26, s1, v37, v30
	v_add_co_ci_u32_e64 v27, s1, v38, v31, s1
	v_lshlrev_b64 v[30:31], 3, v[35:36]
	v_add_co_u32 v24, s1, v37, v24
	v_add_co_ci_u32_e64 v25, s1, v38, v25, s1
	v_add_co_u32 v34, s1, v37, v30
	v_add_co_ci_u32_e64 v35, s1, v38, v31, s1
	s_clause 0x4
	global_load_dwordx2 v[32:33], v[6:7], off
	global_load_dwordx2 v[30:31], v[20:21], off
	;; [unrolled: 1-line block ×5, first 2 shown]
.LBB0_11:
	s_or_b32 exec_lo, exec_lo, s10
	s_waitcnt vmcnt(0)
	v_sub_f32_e32 v5, v15, v21
	v_add_f32_e32 v37, v14, v20
	v_sub_f32_e32 v7, v13, v25
	v_add_f32_e32 v39, v12, v24
	v_sub_f32_e32 v34, v11, v27
	v_mul_f32_e32 v48, 0xbe750f2a, v5
	v_add_f32_e32 v40, v10, v26
	v_mul_f32_e32 v45, 0x3eedf032, v7
	v_sub_f32_e32 v35, v29, v31
	v_mul_f32_e32 v44, 0xbf29c268, v34
	v_fma_f32 v6, 0xbf788fa5, v37, -v48
	v_add_f32_e32 v41, v28, v30
	v_fma_f32 v38, 0x3f62ad3f, v39, -v45
	v_sub_f32_e32 v36, v19, v33
	v_mul_f32_e32 v46, 0x3f52af12, v35
	v_add_f32_e32 v6, v8, v6
	v_fma_f32 v43, 0xbf3f9e67, v40, -v44
	v_add_f32_e32 v42, v18, v32
	v_mul_f32_e32 v47, 0xbf6f5d39, v36
	v_fma_f32 v49, 0x3f116cb1, v41, -v46
	v_add_f32_e32 v6, v6, v38
	v_sub_f32_e32 v38, v17, v23
	v_fma_f32 v50, 0xbeb58ec6, v42, -v47
	v_add_f32_e32 v6, v6, v43
	v_add_f32_e32 v43, v16, v22
	v_add_f32_e32 v6, v6, v49
	v_mul_f32_e32 v49, 0x3f7e222b, v38
	v_add_f32_e32 v6, v6, v50
	v_fma_f32 v50, 0x3df6dbef, v43, -v49
	v_add_f32_e32 v6, v6, v50
	s_and_saveexec_b32 s1, s0
	s_cbranch_execz .LBB0_13
; %bb.12:
	v_mul_f32_e32 v50, 0xbf788fa5, v37
	v_mul_f32_e32 v51, 0x3f62ad3f, v39
	;; [unrolled: 1-line block ×5, first 2 shown]
	v_add_f32_e32 v48, v48, v50
	v_add_f32_e32 v45, v45, v51
	v_fmamk_f32 v58, v5, 0x3f29c268, v55
	v_mul_f32_e32 v53, 0x3f116cb1, v41
	v_mul_f32_e32 v54, 0xbeb58ec6, v42
	v_add_f32_e32 v48, v8, v48
	v_mul_f32_e32 v51, 0x3f116cb1, v40
	v_add_f32_e32 v44, v44, v52
	v_fmamk_f32 v52, v7, 0xbf7e222b, v56
	v_add_f32_e32 v58, v8, v58
	v_add_f32_e32 v45, v48, v45
	v_mul_f32_e32 v57, 0xbf788fa5, v41
	v_add_f32_e32 v46, v46, v53
	v_mul_f32_e32 v50, 0x3df6dbef, v43
	v_add_f32_e32 v52, v58, v52
	v_add_f32_e32 v44, v45, v44
	;; [unrolled: 1-line block ×3, first 2 shown]
	v_fmamk_f32 v47, v34, 0x3f52af12, v51
	v_mul_f32_e32 v48, 0x3f62ad3f, v42
	v_fmac_f32_e32 v55, 0xbf29c268, v5
	v_add_f32_e32 v44, v44, v46
	v_fmamk_f32 v46, v35, 0xbe750f2a, v57
	v_add_f32_e32 v47, v52, v47
	v_add_f32_e32 v49, v49, v50
	v_fmac_f32_e32 v56, 0x3f7e222b, v7
	v_add_f32_e32 v44, v44, v45
	v_add_f32_e32 v45, v8, v55
	v_fmamk_f32 v50, v36, 0xbeedf032, v48
	v_add_f32_e32 v46, v47, v46
	v_mul_f32_e32 v47, 0xbeb58ec6, v37
	v_add_f32_e32 v44, v44, v49
	v_add_f32_e32 v45, v45, v56
	v_fmac_f32_e32 v51, 0xbf52af12, v34
	v_add_f32_e32 v46, v46, v50
	v_mul_f32_e32 v49, 0xbeb58ec6, v43
	v_fmamk_f32 v50, v5, 0x3f6f5d39, v47
	v_mul_f32_e32 v52, 0xbf3f9e67, v39
	v_add_f32_e32 v45, v45, v51
	v_fmac_f32_e32 v57, 0x3e750f2a, v35
	v_fmamk_f32 v51, v38, 0x3f6f5d39, v49
	v_add_f32_e32 v50, v8, v50
	v_fmamk_f32 v53, v7, 0xbf29c268, v52
	v_mul_f32_e32 v54, 0x3f62ad3f, v40
	v_add_f32_e32 v45, v45, v57
	v_fmac_f32_e32 v48, 0x3eedf032, v36
	v_add_f32_e32 v46, v46, v51
	v_add_f32_e32 v50, v50, v53
	v_fmamk_f32 v51, v34, 0xbeedf032, v54
	v_mul_f32_e32 v53, 0x3df6dbef, v41
	v_add_f32_e32 v45, v45, v48
	v_fmac_f32_e32 v49, 0xbf6f5d39, v38
	v_fmac_f32_e32 v47, 0xbf6f5d39, v5
	v_add_f32_e32 v48, v50, v51
	v_fmamk_f32 v50, v35, 0x3f7e222b, v53
	v_mul_f32_e32 v51, 0xbf788fa5, v42
	v_add_f32_e32 v45, v45, v49
	v_add_f32_e32 v47, v8, v47
	v_fmac_f32_e32 v52, 0x3f29c268, v7
	v_add_f32_e32 v48, v48, v50
	v_fmamk_f32 v49, v36, 0xbe750f2a, v51
	v_mul_f32_e32 v50, 0x3f116cb1, v43
	v_mul_f32_e32 v55, 0x3df6dbef, v37
	v_add_f32_e32 v47, v47, v52
	v_fmac_f32_e32 v54, 0x3eedf032, v34
	v_add_f32_e32 v48, v48, v49
	v_fmamk_f32 v49, v38, 0xbf52af12, v50
	v_fmamk_f32 v52, v5, 0x3f7e222b, v55
	v_mul_f32_e32 v56, 0xbf788fa5, v39
	v_add_f32_e32 v47, v47, v54
	v_fmac_f32_e32 v53, 0xbf7e222b, v35
	v_add_f32_e32 v48, v48, v49
	v_add_f32_e32 v49, v8, v52
	v_fmamk_f32 v52, v7, 0x3e750f2a, v56
	v_mul_f32_e32 v54, 0xbeb58ec6, v40
	v_fmac_f32_e32 v55, 0xbf7e222b, v5
	v_add_f32_e32 v47, v47, v53
	v_fmac_f32_e32 v51, 0x3e750f2a, v36
	v_add_f32_e32 v49, v49, v52
	v_fmamk_f32 v52, v34, 0xbf6f5d39, v54
	v_mul_f32_e32 v53, 0x3f62ad3f, v41
	v_add_f32_e32 v55, v8, v55
	v_fmac_f32_e32 v56, 0xbe750f2a, v7
	v_add_f32_e32 v47, v47, v51
	v_fmac_f32_e32 v50, 0x3f52af12, v38
	v_add_f32_e32 v49, v49, v52
	v_fmamk_f32 v51, v35, 0xbeedf032, v53
	v_add_f32_e32 v52, v55, v56
	v_fmac_f32_e32 v54, 0x3f6f5d39, v34
	v_mul_f32_e32 v55, 0x3f116cb1, v37
	v_add_f32_e32 v47, v47, v50
	v_mul_f32_e32 v50, 0x3f116cb1, v42
	v_add_f32_e32 v49, v49, v51
	v_add_f32_e32 v51, v52, v54
	v_fmac_f32_e32 v53, 0x3eedf032, v35
	v_fmamk_f32 v54, v5, 0x3f52af12, v55
	v_mul_f32_e32 v56, 0xbeb58ec6, v39
	v_fmamk_f32 v52, v36, 0x3f52af12, v50
	v_mul_f32_e32 v57, 0xbf3f9e67, v43
	v_add_f32_e32 v51, v51, v53
	v_fmac_f32_e32 v50, 0xbf52af12, v36
	v_add_f32_e32 v53, v8, v54
	v_fmamk_f32 v54, v7, 0x3f6f5d39, v56
	v_mul_f32_e32 v58, 0xbf788fa5, v40
	v_fmamk_f32 v59, v38, 0x3f29c268, v57
	v_add_f32_e32 v50, v51, v50
	v_fmac_f32_e32 v57, 0xbf29c268, v38
	v_add_f32_e32 v51, v53, v54
	v_fmamk_f32 v53, v34, 0x3e750f2a, v58
	v_mul_f32_e32 v54, 0xbf3f9e67, v41
	v_add_f32_e32 v49, v49, v52
	v_add_f32_e32 v50, v50, v57
	;; [unrolled: 1-line block ×4, first 2 shown]
	v_fmamk_f32 v52, v35, 0xbf29c268, v54
	v_mul_f32_e32 v53, 0x3df6dbef, v42
	v_fmac_f32_e32 v55, 0xbf52af12, v5
	v_add_f32_e32 v57, v57, v12
	v_fmac_f32_e32 v56, 0xbf6f5d39, v7
	v_add_f32_e32 v51, v51, v52
	v_fmamk_f32 v52, v36, 0xbf7e222b, v53
	v_add_f32_e32 v55, v8, v55
	v_fmac_f32_e32 v58, 0xbe750f2a, v34
	v_mul_f32_e32 v37, 0x3f62ad3f, v37
	v_fmac_f32_e32 v54, 0x3f29c268, v35
	v_add_f32_e32 v51, v51, v52
	v_add_f32_e32 v52, v57, v10
	;; [unrolled: 1-line block ×3, first 2 shown]
	v_mul_f32_e32 v39, 0x3f116cb1, v39
	v_fmamk_f32 v57, v5, 0x3eedf032, v37
	v_fmac_f32_e32 v37, 0xbeedf032, v5
	v_add_f32_e32 v52, v52, v28
	v_add_f32_e32 v55, v55, v58
	v_mul_f32_e32 v40, 0x3df6dbef, v40
	v_mul_f32_e32 v41, 0xbeb58ec6, v41
	v_add_f32_e32 v37, v8, v37
	v_add_f32_e32 v52, v52, v18
	;; [unrolled: 1-line block ×3, first 2 shown]
	v_fmamk_f32 v54, v7, 0x3f52af12, v39
	v_fmac_f32_e32 v39, 0xbf52af12, v7
	v_add_f32_e32 v8, v8, v57
	v_add_f32_e32 v7, v52, v16
	v_fmamk_f32 v52, v34, 0x3f7e222b, v40
	v_fmac_f32_e32 v40, 0xbf7e222b, v34
	v_add_f32_e32 v37, v37, v39
	v_add_f32_e32 v8, v8, v54
	;; [unrolled: 1-line block ×3, first 2 shown]
	v_fmamk_f32 v34, v35, 0x3f6f5d39, v41
	v_mul_f32_e32 v39, 0xbf3f9e67, v42
	v_add_f32_e32 v37, v37, v40
	v_fmac_f32_e32 v41, 0xbf6f5d39, v35
	v_add_f32_e32 v7, v32, v7
	v_add_f32_e32 v8, v8, v52
	v_fmamk_f32 v35, v36, 0x3f29c268, v39
	v_mul_f32_e32 v40, 0xbf788fa5, v43
	v_add_f32_e32 v37, v37, v41
	v_add_f32_e32 v7, v30, v7
	v_fmac_f32_e32 v39, 0xbf29c268, v36
	v_mul_f32_e32 v60, 0x3f62ad3f, v43
	v_fmac_f32_e32 v53, 0x3f7e222b, v36
	v_add_f32_e32 v8, v8, v34
	v_add_f32_e32 v7, v26, v7
	v_fmamk_f32 v34, v38, 0x3e750f2a, v40
	v_add_f32_e32 v36, v37, v39
	v_fmac_f32_e32 v40, 0xbe750f2a, v38
	v_fmamk_f32 v56, v38, 0xbeedf032, v60
	v_add_f32_e32 v7, v24, v7
	v_add_f32_e32 v5, v5, v53
	v_fmac_f32_e32 v60, 0x3eedf032, v38
	v_add_f32_e32 v8, v8, v35
	v_add_f32_e32 v35, v36, v40
	;; [unrolled: 1-line block ×3, first 2 shown]
	v_mad_u32_u24 v36, v0, 52, 0
	v_add_f32_e32 v5, v5, v60
	v_add_f32_e32 v37, v49, v59
	;; [unrolled: 1-line block ×4, first 2 shown]
	ds_write2_b32 v36, v7, v35 offset1:1
	ds_write2_b32 v36, v5, v50 offset0:2 offset1:3
	ds_write2_b32 v36, v47, v45 offset0:4 offset1:5
	;; [unrolled: 1-line block ×5, first 2 shown]
	ds_write_b32 v36, v8 offset:48
.LBB0_13:
	s_or_b32 exec_lo, exec_lo, s1
	v_sub_f32_e32 v47, v14, v20
	v_add_f32_e32 v45, v15, v21
	v_sub_f32_e32 v44, v12, v24
	v_add_f32_e32 v42, v13, v25
	v_sub_f32_e32 v41, v10, v26
	v_mul_f32_e32 v46, 0xbe750f2a, v47
	v_add_f32_e32 v40, v11, v27
	v_mul_f32_e32 v43, 0x3eedf032, v44
	v_sub_f32_e32 v18, v18, v32
	v_mul_f32_e32 v32, 0xbf29c268, v41
	v_fmamk_f32 v5, v45, 0xbf788fa5, v46
	v_sub_f32_e32 v12, v16, v22
	v_fmamk_f32 v7, v42, 0x3f62ad3f, v43
	v_lshl_add_u32 v22, v0, 2, 0
	v_sub_f32_e32 v28, v28, v30
	v_add_f32_e32 v5, v9, v5
	v_fmamk_f32 v8, v40, 0xbf3f9e67, v32
	v_add_f32_e32 v26, v29, v31
	v_add_nc_u32_e32 v10, 0x600, v22
	v_mul_f32_e32 v30, 0x3f52af12, v28
	v_add_f32_e32 v5, v5, v7
	v_add_nc_u32_e32 v7, 0x200, v22
	s_waitcnt lgkmcnt(0)
	s_barrier
	buffer_gl0_inv
	v_add_f32_e32 v8, v5, v8
	ds_read2_b32 v[34:35], v22 offset1:104
	ds_read2_b32 v[38:39], v7 offset0:80 offset1:184
	ds_read2_b32 v[36:37], v10 offset0:32 offset1:136
	ds_read_b32 v5, v22 offset:2496
	v_add_f32_e32 v20, v19, v33
	v_mul_f32_e32 v24, 0xbf6f5d39, v18
	v_fmamk_f32 v14, v26, 0x3f116cb1, v30
	v_mul_f32_e32 v16, 0x3f7e222b, v12
	s_waitcnt lgkmcnt(0)
	s_barrier
	v_fmamk_f32 v48, v20, 0xbeb58ec6, v24
	v_add_f32_e32 v8, v8, v14
	v_add_f32_e32 v14, v17, v23
	buffer_gl0_inv
	v_add_f32_e32 v8, v8, v48
	v_fmamk_f32 v48, v14, 0x3df6dbef, v16
	v_add_f32_e32 v8, v8, v48
	s_and_saveexec_b32 s1, s0
	s_cbranch_execz .LBB0_15
; %bb.14:
	v_add_f32_e32 v15, v9, v15
	v_mul_f32_e32 v54, 0xbf52af12, v47
	v_mul_f32_e32 v53, 0xbeedf032, v47
	;; [unrolled: 1-line block ×4, first 2 shown]
	v_add_f32_e32 v13, v15, v13
	v_mul_f32_e32 v56, 0xbf52af12, v44
	v_mul_f32_e32 v58, 0x3f29c268, v44
	v_fma_f32 v59, 0x3f62ad3f, v45, -v53
	v_mul_f32_e32 v49, 0x3f62ad3f, v42
	v_add_f32_e32 v11, v13, v11
	v_mul_f32_e32 v13, 0xbf7e222b, v47
	v_mul_f32_e32 v47, 0xbf29c268, v47
	;; [unrolled: 1-line block ×3, first 2 shown]
	v_fmac_f32_e32 v53, 0x3f62ad3f, v45
	v_add_f32_e32 v11, v11, v29
	v_mul_f32_e32 v29, 0xbf6f5d39, v44
	v_fma_f32 v60, 0x3df6dbef, v45, -v13
	v_fmac_f32_e32 v13, 0x3df6dbef, v45
	v_fma_f32 v61, 0xbf3f9e67, v45, -v47
	v_add_f32_e32 v11, v11, v19
	v_fma_f32 v19, 0x3f116cb1, v45, -v54
	v_fmac_f32_e32 v54, 0x3f116cb1, v45
	v_fmac_f32_e32 v47, 0xbf3f9e67, v45
	v_add_f32_e32 v13, v9, v13
	v_add_f32_e32 v11, v11, v17
	v_fma_f32 v17, 0xbeb58ec6, v45, -v55
	v_add_f32_e32 v19, v9, v19
	v_fmac_f32_e32 v55, 0xbeb58ec6, v45
	v_fma_f32 v45, 0x3f116cb1, v42, -v56
	v_add_f32_e32 v11, v11, v23
	v_sub_f32_e32 v23, v48, v46
	v_add_f32_e32 v46, v9, v59
	v_add_f32_e32 v17, v9, v17
	v_fmac_f32_e32 v56, 0x3f116cb1, v42
	v_add_f32_e32 v11, v33, v11
	v_fma_f32 v33, 0xbeb58ec6, v42, -v29
	v_fmac_f32_e32 v29, 0xbeb58ec6, v42
	v_add_f32_e32 v48, v9, v53
	v_add_f32_e32 v53, v9, v60
	;; [unrolled: 1-line block ×5, first 2 shown]
	v_mul_f32_e32 v33, 0x3f7e222b, v44
	v_mul_f32_e32 v44, 0xbf7e222b, v41
	v_add_f32_e32 v11, v27, v11
	v_add_f32_e32 v29, v31, v29
	v_fma_f32 v31, 0xbf3f9e67, v42, -v58
	v_add_f32_e32 v27, v9, v55
	v_add_f32_e32 v54, v9, v61
	;; [unrolled: 1-line block ×6, first 2 shown]
	v_fmac_f32_e32 v58, 0xbf3f9e67, v42
	v_add_f32_e32 v11, v21, v11
	v_fma_f32 v21, 0xbf788fa5, v42, -v57
	v_fmac_f32_e32 v57, 0xbf788fa5, v42
	v_add_f32_e32 v17, v17, v31
	v_fma_f32 v31, 0x3df6dbef, v42, -v33
	v_fmac_f32_e32 v33, 0x3df6dbef, v42
	v_sub_f32_e32 v42, v49, v43
	v_fma_f32 v43, 0x3df6dbef, v40, -v44
	v_mul_f32_e32 v45, 0xbe750f2a, v41
	v_add_f32_e32 v25, v48, v56
	v_fmac_f32_e32 v44, 0x3df6dbef, v40
	v_add_f32_e32 v9, v9, v42
	v_add_f32_e32 v23, v23, v43
	v_fma_f32 v42, 0xbf788fa5, v40, -v45
	v_mul_f32_e32 v43, 0x3f6f5d39, v41
	v_add_f32_e32 v21, v53, v21
	v_add_f32_e32 v13, v13, v57
	v_add_f32_e32 v25, v25, v44
	v_mul_f32_e32 v44, 0x3eedf032, v41
	v_add_f32_e32 v19, v19, v42
	v_fma_f32 v42, 0xbeb58ec6, v40, -v43
	v_fmac_f32_e32 v43, 0xbeb58ec6, v40
	v_mul_f32_e32 v41, 0xbf52af12, v41
	v_mul_f32_e32 v50, 0xbf3f9e67, v40
	v_add_f32_e32 v31, v54, v31
	v_fmac_f32_e32 v45, 0xbf788fa5, v40
	v_add_f32_e32 v21, v21, v42
	v_add_f32_e32 v13, v13, v43
	v_fma_f32 v42, 0x3f116cb1, v40, -v41
	v_mul_f32_e32 v43, 0xbf6f5d39, v28
	v_add_f32_e32 v29, v29, v45
	v_fma_f32 v45, 0x3f62ad3f, v40, -v44
	v_fmac_f32_e32 v44, 0x3f62ad3f, v40
	v_fmac_f32_e32 v41, 0x3f116cb1, v40
	v_sub_f32_e32 v32, v50, v32
	v_add_f32_e32 v31, v31, v42
	v_fma_f32 v40, 0xbeb58ec6, v26, -v43
	v_mul_f32_e32 v42, 0x3f29c268, v28
	v_add_f32_e32 v33, v47, v33
	v_add_f32_e32 v9, v9, v32
	v_mul_f32_e32 v51, 0x3f116cb1, v26
	v_add_f32_e32 v23, v23, v40
	v_fma_f32 v32, 0xbf3f9e67, v26, -v42
	v_mul_f32_e32 v40, 0x3eedf032, v28
	v_add_f32_e32 v33, v33, v41
	v_mul_f32_e32 v41, 0xbf7e222b, v28
	v_mul_f32_e32 v28, 0x3e750f2a, v28
	v_add_f32_e32 v19, v19, v32
	v_fma_f32 v32, 0x3f62ad3f, v26, -v40
	v_fmac_f32_e32 v42, 0xbf3f9e67, v26
	v_fmac_f32_e32 v43, 0xbeb58ec6, v26
	;; [unrolled: 1-line block ×3, first 2 shown]
	v_add_f32_e32 v27, v27, v58
	v_add_f32_e32 v21, v21, v32
	v_fma_f32 v32, 0xbf788fa5, v26, -v28
	v_add_f32_e32 v29, v29, v42
	v_fma_f32 v42, 0x3df6dbef, v26, -v41
	v_fmac_f32_e32 v41, 0x3df6dbef, v26
	v_fmac_f32_e32 v28, 0xbf788fa5, v26
	v_sub_f32_e32 v26, v51, v30
	v_add_f32_e32 v30, v31, v32
	v_mul_f32_e32 v31, 0x3f7e222b, v18
	v_add_f32_e32 v17, v17, v45
	v_add_f32_e32 v13, v13, v40
	;; [unrolled: 1-line block ×3, first 2 shown]
	v_mul_f32_e32 v40, 0xbf29c268, v18
	v_fma_f32 v26, 0x3df6dbef, v20, -v31
	v_fmac_f32_e32 v31, 0x3df6dbef, v20
	v_add_f32_e32 v27, v27, v44
	v_add_f32_e32 v17, v17, v42
	v_fma_f32 v32, 0xbf3f9e67, v20, -v40
	v_add_f32_e32 v19, v19, v26
	v_mul_f32_e32 v26, 0x3e750f2a, v18
	v_add_f32_e32 v29, v29, v31
	v_mul_f32_e32 v15, 0xbeb58ec6, v20
	v_add_f32_e32 v27, v27, v41
	v_add_f32_e32 v23, v23, v32
	v_fma_f32 v31, 0xbf788fa5, v20, -v26
	v_mul_f32_e32 v32, 0xbf52af12, v18
	v_fmac_f32_e32 v26, 0xbf788fa5, v20
	v_add_f32_e32 v28, v33, v28
	v_mul_f32_e32 v18, 0x3eedf032, v18
	v_add_f32_e32 v17, v17, v31
	v_mul_f32_e32 v31, 0xbe750f2a, v12
	v_fma_f32 v33, 0x3f116cb1, v20, -v32
	v_fmac_f32_e32 v32, 0x3f116cb1, v20
	v_add_f32_e32 v26, v27, v26
	v_sub_f32_e32 v15, v15, v24
	v_fma_f32 v24, 0xbf788fa5, v14, -v31
	v_mul_f32_e32 v27, 0x3eedf032, v12
	v_add_f32_e32 v13, v13, v32
	v_fma_f32 v32, 0x3f62ad3f, v20, -v18
	v_fmac_f32_e32 v18, 0x3f62ad3f, v20
	v_add_f32_e32 v9, v9, v15
	v_add_f32_e32 v15, v23, v24
	v_fma_f32 v23, 0x3f62ad3f, v14, -v27
	v_mul_f32_e32 v24, 0xbf29c268, v12
	v_add_f32_e32 v21, v21, v33
	v_add_f32_e32 v18, v28, v18
	v_mul_f32_e32 v28, 0x3f52af12, v12
	v_add_f32_e32 v19, v19, v23
	v_fma_f32 v23, 0xbf3f9e67, v14, -v24
	v_mul_f32_e32 v12, 0xbf6f5d39, v12
	v_mul_f32_e32 v52, 0x3df6dbef, v14
	v_add_f32_e32 v25, v25, v43
	v_fmac_f32_e32 v40, 0xbf3f9e67, v20
	v_add_f32_e32 v20, v30, v32
	v_fma_f32 v30, 0x3f116cb1, v14, -v28
	v_add_f32_e32 v21, v21, v23
	v_fma_f32 v23, 0xbeb58ec6, v14, -v12
	v_sub_f32_e32 v16, v52, v16
	v_fmac_f32_e32 v24, 0xbf3f9e67, v14
	v_fmac_f32_e32 v28, 0x3f116cb1, v14
	;; [unrolled: 1-line block ×3, first 2 shown]
	v_add_f32_e32 v25, v25, v40
	v_fmac_f32_e32 v31, 0xbf788fa5, v14
	v_fmac_f32_e32 v27, 0x3f62ad3f, v14
	v_mad_u32_u24 v14, v0, 48, v22
	v_add_f32_e32 v17, v17, v30
	v_add_f32_e32 v20, v20, v23
	;; [unrolled: 1-line block ×8, first 2 shown]
	ds_write2_b32 v14, v11, v15 offset1:1
	ds_write2_b32 v14, v19, v21 offset0:2 offset1:3
	ds_write2_b32 v14, v17, v20 offset0:4 offset1:5
	;; [unrolled: 1-line block ×5, first 2 shown]
	ds_write_b32 v14, v25 offset:48
.LBB0_15:
	s_or_b32 exec_lo, exec_lo, s1
	v_and_b32_e32 v9, 0xff, v0
	v_mov_b32_e32 v11, 6
	s_load_dwordx2 s[4:5], s[4:5], 0x0
	s_waitcnt lgkmcnt(0)
	s_barrier
	v_mul_lo_u16 v9, 0x4f, v9
	buffer_gl0_inv
	v_mov_b32_e32 v19, 2
	v_cmp_gt_u32_e64 s0, 0x5b, v0
	v_lshrrev_b16 v17, 10, v9
	v_mul_lo_u16 v9, v17, 13
	v_sub_nc_u16 v18, v0, v9
	v_mul_u32_u24_sdwa v9, v18, v11 dst_sel:DWORD dst_unused:UNUSED_PAD src0_sel:BYTE_0 src1_sel:DWORD
	v_lshlrev_b32_e32 v9, 3, v9
	s_clause 0x2
	global_load_dwordx4 v[11:14], v9, s[8:9]
	global_load_dwordx4 v[27:30], v9, s[8:9] offset:16
	global_load_dwordx4 v[40:43], v9, s[8:9] offset:32
	ds_read2_b32 v[15:16], v22 offset1:104
	ds_read2_b32 v[25:26], v7 offset0:80 offset1:184
	ds_read2_b32 v[9:10], v10 offset0:32 offset1:136
	ds_read_b32 v31, v22 offset:2496
	v_mov_b32_e32 v7, 0x16c
	s_waitcnt vmcnt(0) lgkmcnt(0)
	s_barrier
	buffer_gl0_inv
	v_mul_u32_u24_sdwa v7, v17, v7 dst_sel:DWORD dst_unused:UNUSED_PAD src0_sel:WORD_0 src1_sel:DWORD
	v_lshlrev_b32_sdwa v17, v19, v18 dst_sel:DWORD dst_unused:UNUSED_PAD src0_sel:DWORD src1_sel:BYTE_0
	v_add3_u32 v21, 0, v7, v17
	v_mul_f32_e32 v17, v16, v12
	v_mul_f32_e32 v7, v25, v14
	;; [unrolled: 1-line block ×12, first 2 shown]
	v_fmac_f32_e32 v17, v35, v11
	v_fmac_f32_e32 v7, v38, v13
	;; [unrolled: 1-line block ×4, first 2 shown]
	v_fma_f32 v24, v16, v11, -v12
	v_fma_f32 v25, v25, v13, -v14
	v_fmac_f32_e32 v18, v39, v27
	v_fma_f32 v16, v26, v27, -v28
	v_fmac_f32_e32 v19, v36, v29
	v_fma_f32 v28, v31, v42, -v33
	v_fma_f32 v26, v9, v29, -v30
	;; [unrolled: 1-line block ×3, first 2 shown]
	v_add_f32_e32 v5, v17, v23
	v_add_f32_e32 v9, v7, v20
	v_sub_f32_e32 v10, v24, v28
	v_add_f32_e32 v11, v18, v19
	v_sub_f32_e32 v12, v25, v27
	v_sub_f32_e32 v13, v26, v16
	v_add_f32_e32 v14, v9, v5
	v_sub_f32_e32 v29, v9, v5
	v_sub_f32_e32 v5, v5, v11
	;; [unrolled: 1-line block ×3, first 2 shown]
	v_add_f32_e32 v9, v13, v12
	v_sub_f32_e32 v31, v13, v12
	v_sub_f32_e32 v12, v12, v10
	v_add_f32_e32 v11, v11, v14
	v_sub_f32_e32 v13, v10, v13
	v_add_f32_e32 v10, v9, v10
	v_mul_f32_e32 v5, 0x3f4a47b2, v5
	v_mul_f32_e32 v14, 0x3d64c772, v30
	;; [unrolled: 1-line block ×4, first 2 shown]
	v_add_f32_e32 v9, v34, v11
	v_fmamk_f32 v30, v30, 0x3d64c772, v5
	v_fma_f32 v14, 0x3f3bfb3b, v29, -v14
	v_fmamk_f32 v33, v13, 0xbeae86e6, v31
	v_fma_f32 v12, 0xbf5ff5aa, v12, -v31
	v_fma_f32 v31, 0x3eae86e6, v13, -v32
	v_fmamk_f32 v11, v11, 0xbf955555, v9
	v_fma_f32 v5, 0xbf3bfb3b, v29, -v5
	v_fmac_f32_e32 v33, 0xbee1c552, v10
	v_fmac_f32_e32 v12, 0xbee1c552, v10
	;; [unrolled: 1-line block ×3, first 2 shown]
	v_add_f32_e32 v29, v30, v11
	v_add_f32_e32 v5, v5, v11
	;; [unrolled: 1-line block ×5, first 2 shown]
	v_sub_f32_e32 v14, v11, v12
	v_add_f32_e32 v11, v12, v11
	v_sub_f32_e32 v12, v5, v31
	v_sub_f32_e32 v5, v29, v33
	ds_write2_b32 v21, v9, v10 offset1:13
	ds_write2_b32 v21, v13, v14 offset0:26 offset1:39
	ds_write2_b32 v21, v11, v12 offset0:52 offset1:65
	ds_write_b32 v21, v5 offset:312
	s_waitcnt lgkmcnt(0)
	s_barrier
	buffer_gl0_inv
	s_and_saveexec_b32 s1, s0
	s_cbranch_execz .LBB0_17
; %bb.16:
	v_add_nc_u32_e32 v5, 0x200, v22
	v_add_nc_u32_e32 v6, 0x400, v22
	;; [unrolled: 1-line block ×3, first 2 shown]
	ds_read2_b32 v[9:10], v22 offset1:91
	ds_read2_b32 v[13:14], v5 offset0:54 offset1:145
	ds_read2_b32 v[11:12], v6 offset0:108 offset1:199
	;; [unrolled: 1-line block ×3, first 2 shown]
.LBB0_17:
	s_or_b32 exec_lo, exec_lo, s1
	v_add_f32_e32 v24, v24, v28
	v_add_f32_e32 v25, v25, v27
	v_sub_f32_e32 v17, v17, v23
	v_add_f32_e32 v16, v16, v26
	v_sub_f32_e32 v7, v7, v20
	v_sub_f32_e32 v18, v19, v18
	v_add_f32_e32 v19, v25, v24
	v_sub_f32_e32 v20, v25, v24
	v_sub_f32_e32 v23, v24, v16
	;; [unrolled: 1-line block ×3, first 2 shown]
	v_add_f32_e32 v25, v18, v7
	v_add_f32_e32 v16, v16, v19
	v_sub_f32_e32 v19, v18, v7
	v_sub_f32_e32 v7, v7, v17
	;; [unrolled: 1-line block ×3, first 2 shown]
	v_add_f32_e32 v17, v25, v17
	v_add_f32_e32 v15, v15, v16
	v_mul_f32_e32 v23, 0x3f4a47b2, v23
	v_mul_f32_e32 v25, 0x3d64c772, v24
	;; [unrolled: 1-line block ×4, first 2 shown]
	v_fmamk_f32 v16, v16, 0xbf955555, v15
	v_fmamk_f32 v24, v24, 0x3d64c772, v23
	v_fma_f32 v25, 0x3f3bfb3b, v20, -v25
	v_fma_f32 v20, 0xbf3bfb3b, v20, -v23
	v_fmamk_f32 v23, v18, 0xbeae86e6, v19
	v_fma_f32 v7, 0xbf5ff5aa, v7, -v19
	v_fma_f32 v26, 0x3eae86e6, v18, -v26
	v_add_f32_e32 v24, v24, v16
	v_add_f32_e32 v19, v25, v16
	;; [unrolled: 1-line block ×3, first 2 shown]
	v_fmac_f32_e32 v23, 0xbee1c552, v17
	v_fmac_f32_e32 v26, 0xbee1c552, v17
	;; [unrolled: 1-line block ×3, first 2 shown]
	s_waitcnt lgkmcnt(0)
	s_barrier
	v_sub_f32_e32 v16, v24, v23
	v_sub_f32_e32 v17, v20, v26
	v_add_f32_e32 v18, v7, v19
	v_sub_f32_e32 v19, v19, v7
	v_add_f32_e32 v20, v26, v20
	v_add_f32_e32 v7, v23, v24
	buffer_gl0_inv
	ds_write2_b32 v21, v15, v16 offset1:13
	ds_write2_b32 v21, v17, v18 offset0:26 offset1:39
	ds_write2_b32 v21, v19, v20 offset0:52 offset1:65
	ds_write_b32 v21, v7 offset:312
	s_waitcnt lgkmcnt(0)
	s_barrier
	buffer_gl0_inv
	s_and_saveexec_b32 s1, s0
	s_cbranch_execnz .LBB0_20
; %bb.18:
	s_or_b32 exec_lo, exec_lo, s1
	s_and_b32 s0, vcc_lo, s0
	s_and_saveexec_b32 s1, s0
	s_cbranch_execnz .LBB0_21
.LBB0_19:
	s_endpgm
.LBB0_20:
	v_add_nc_u32_e32 v7, 0x200, v22
	v_add_nc_u32_e32 v8, 0x400, v22
	;; [unrolled: 1-line block ×3, first 2 shown]
	ds_read2_b32 v[15:16], v22 offset1:91
	ds_read2_b32 v[17:18], v7 offset0:54 offset1:145
	ds_read2_b32 v[19:20], v8 offset0:108 offset1:199
	;; [unrolled: 1-line block ×3, first 2 shown]
	s_or_b32 exec_lo, exec_lo, s1
	s_and_b32 s0, vcc_lo, s0
	s_and_saveexec_b32 s1, s0
	s_cbranch_execz .LBB0_19
.LBB0_21:
	v_mul_lo_u32 v21, s5, v3
	v_mul_lo_u32 v22, s4, v4
	v_mad_u64_u32 v[3:4], null, s4, v3, 0
	v_mad_u64_u32 v[29:30], null, s2, v0, 0
	v_add_nc_u32_e32 v35, 0x5b, v0
	v_add_nc_u32_e32 v39, 0xb6, v0
	v_lshlrev_b64 v[1:2], 3, v[1:2]
	v_mul_u32_u24_e32 v23, 7, v0
	v_add3_u32 v4, v4, v22, v21
	v_mad_u64_u32 v[31:32], null, s2, v35, 0
	v_mov_b32_e32 v21, v30
	v_lshlrev_b32_e32 v52, 3, v23
	v_lshlrev_b64 v[3:4], 3, v[3:4]
	v_mad_u64_u32 v[33:34], null, s3, v0, v[21:22]
	s_clause 0x1
	global_load_dwordx4 v[21:24], v52, s[8:9] offset:640
	global_load_dwordx4 v[25:28], v52, s[8:9] offset:624
	v_add_co_u32 v36, vcc_lo, s14, v3
	v_add_co_ci_u32_e32 v37, vcc_lo, s15, v4, vcc_lo
	v_mov_b32_e32 v30, v33
	v_mad_u64_u32 v[3:4], null, s3, v35, v[32:33]
	v_mad_u64_u32 v[33:34], null, s2, v39, 0
	v_add_nc_u32_e32 v4, 0x111, v0
	v_add_co_u32 v53, vcc_lo, v36, v1
	v_add_co_ci_u32_e32 v54, vcc_lo, v37, v2, vcc_lo
	v_mad_u64_u32 v[35:36], null, s2, v4, 0
	v_add_nc_u32_e32 v2, 0x16c, v0
	v_mov_b32_e32 v1, v34
	v_mov_b32_e32 v32, v3
	v_add_nc_u32_e32 v3, 0x1c7, v0
	v_add_nc_u32_e32 v34, 0x222, v0
	v_mad_u64_u32 v[37:38], null, s2, v2, 0
	v_mad_u64_u32 v[39:40], null, s3, v39, v[1:2]
	;; [unrolled: 1-line block ×3, first 2 shown]
	v_mov_b32_e32 v1, v36
	v_add_nc_u32_e32 v36, 0x27d, v0
	v_mad_u64_u32 v[42:43], null, s2, v34, 0
	v_mov_b32_e32 v0, v38
	v_mad_u64_u32 v[46:47], null, s3, v4, v[1:2]
	v_mad_u64_u32 v[44:45], null, s2, v36, 0
	v_mov_b32_e32 v1, v41
	v_lshlrev_b64 v[29:30], 3, v[29:30]
	v_lshlrev_b64 v[31:32], 3, v[31:32]
	v_mad_u64_u32 v[47:48], null, s3, v2, v[0:1]
	v_mov_b32_e32 v0, v43
	v_mov_b32_e32 v4, v45
	v_mad_u64_u32 v[48:49], null, s3, v3, v[1:2]
	v_add_co_u32 v29, vcc_lo, v53, v29
	v_mad_u64_u32 v[49:50], null, s3, v34, v[0:1]
	v_mad_u64_u32 v[50:51], null, s3, v36, v[4:5]
	s_clause 0x1
	global_load_dwordx4 v[0:3], v52, s[8:9] offset:656
	global_load_dwordx2 v[51:52], v52, s[8:9] offset:672
	v_mov_b32_e32 v41, v48
	v_mov_b32_e32 v34, v39
	;; [unrolled: 1-line block ×6, first 2 shown]
	v_lshlrev_b64 v[39:40], 3, v[40:41]
	v_lshlrev_b64 v[41:42], 3, v[42:43]
	;; [unrolled: 1-line block ×4, first 2 shown]
	v_add_co_ci_u32_e32 v30, vcc_lo, v54, v30, vcc_lo
	v_lshlrev_b64 v[35:36], 3, v[35:36]
	v_add_co_u32 v31, vcc_lo, v53, v31
	v_add_co_ci_u32_e32 v32, vcc_lo, v54, v32, vcc_lo
	v_lshlrev_b64 v[37:38], 3, v[37:38]
	v_add_co_u32 v33, vcc_lo, v53, v33
	v_add_co_ci_u32_e32 v34, vcc_lo, v54, v34, vcc_lo
	v_add_co_u32 v35, vcc_lo, v53, v35
	v_add_co_ci_u32_e32 v36, vcc_lo, v54, v36, vcc_lo
	v_add_co_u32 v37, vcc_lo, v53, v37
	v_add_co_ci_u32_e32 v38, vcc_lo, v54, v38, vcc_lo
	v_add_co_u32 v39, vcc_lo, v53, v39
	v_add_co_ci_u32_e32 v40, vcc_lo, v54, v40, vcc_lo
	s_waitcnt vmcnt(3)
	v_mul_f32_e32 v4, v11, v24
	s_waitcnt vmcnt(2) lgkmcnt(2)
	v_mul_f32_e32 v45, v17, v28
	v_mul_f32_e32 v47, v10, v26
	;; [unrolled: 1-line block ×6, first 2 shown]
	s_waitcnt lgkmcnt(1)
	v_fma_f32 v4, v19, v23, -v4
	v_mul_f32_e32 v19, v19, v24
	v_fmac_f32_e32 v45, v13, v27
	v_fmac_f32_e32 v49, v14, v21
	;; [unrolled: 1-line block ×3, first 2 shown]
	v_fma_f32 v10, v17, v27, -v28
	v_fmac_f32_e32 v19, v11, v23
	v_sub_f32_e32 v4, v15, v4
	v_sub_f32_e32 v13, v9, v19
	v_fma_f32 v15, v15, 2.0, -v4
	v_fma_f32 v9, v9, 2.0, -v13
	s_waitcnt vmcnt(1) lgkmcnt(0)
	v_mul_f32_e32 v46, v7, v3
	v_mul_f32_e32 v48, v12, v1
	s_waitcnt vmcnt(0)
	v_mul_f32_e32 v50, v8, v52
	v_mul_f32_e32 v52, v6, v52
	;; [unrolled: 1-line block ×4, first 2 shown]
	v_fma_f32 v20, v20, v0, -v48
	v_fmac_f32_e32 v46, v5, v2
	v_fma_f32 v5, v16, v25, -v47
	v_fmac_f32_e32 v50, v6, v51
	v_fma_f32 v6, v18, v21, -v22
	v_fma_f32 v8, v8, v51, -v52
	v_fmac_f32_e32 v1, v12, v0
	v_fma_f32 v0, v7, v2, -v3
	v_sub_f32_e32 v2, v45, v46
	v_sub_f32_e32 v7, v5, v20
	;; [unrolled: 1-line block ×6, first 2 shown]
	v_fma_f32 v20, v45, 2.0, -v2
	v_fma_f32 v19, v49, 2.0, -v3
	;; [unrolled: 1-line block ×3, first 2 shown]
	v_add_f32_e32 v17, v11, v8
	v_add_f32_e32 v18, v13, v12
	v_fma_f32 v10, v10, 2.0, -v12
	v_fma_f32 v12, v26, 2.0, -v11
	;; [unrolled: 1-line block ×3, first 2 shown]
	v_sub_f32_e32 v14, v4, v2
	v_sub_f32_e32 v16, v7, v3
	v_fmamk_f32 v2, v17, 0x3f3504f3, v18
	v_sub_f32_e32 v10, v15, v10
	v_sub_f32_e32 v8, v12, v19
	;; [unrolled: 1-line block ×4, first 2 shown]
	v_fma_f32 v22, v4, 2.0, -v14
	v_fma_f32 v23, v7, 2.0, -v16
	v_fma_f32 v24, v11, 2.0, -v17
	v_fma_f32 v25, v13, 2.0, -v18
	v_fmamk_f32 v3, v16, 0x3f3504f3, v14
	v_fmac_f32_e32 v2, 0x3f3504f3, v16
	v_add_f32_e32 v4, v19, v20
	v_fma_f32 v16, v15, 2.0, -v10
	v_fma_f32 v13, v21, 2.0, -v20
	;; [unrolled: 1-line block ×4, first 2 shown]
	v_fmamk_f32 v7, v23, 0xbf3504f3, v22
	v_fmamk_f32 v6, v24, 0xbf3504f3, v25
	v_sub_f32_e32 v13, v16, v13
	v_fmac_f32_e32 v3, 0xbf3504f3, v17
	v_sub_f32_e32 v12, v20, v12
	v_fmac_f32_e32 v7, 0xbf3504f3, v24
	v_fmac_f32_e32 v6, 0x3f3504f3, v23
	v_sub_f32_e32 v5, v10, v8
	v_add_co_u32 v0, vcc_lo, v53, v41
	v_fma_f32 v17, v16, 2.0, -v13
	v_fma_f32 v16, v20, 2.0, -v12
	;; [unrolled: 1-line block ×5, first 2 shown]
	v_add_co_ci_u32_e32 v1, vcc_lo, v54, v42, vcc_lo
	v_fma_f32 v11, v10, 2.0, -v5
	v_fma_f32 v10, v19, 2.0, -v4
	;; [unrolled: 1-line block ×3, first 2 shown]
	v_add_co_u32 v18, vcc_lo, v53, v43
	v_add_co_ci_u32_e32 v19, vcc_lo, v54, v44, vcc_lo
	global_store_dwordx2 v[29:30], v[16:17], off
	global_store_dwordx2 v[31:32], v[14:15], off
	;; [unrolled: 1-line block ×8, first 2 shown]
	s_endpgm
	.section	.rodata,"a",@progbits
	.p2align	6, 0x0
	.amdhsa_kernel fft_rtc_back_len728_factors_13_7_8_wgs_104_tpt_104_halfLds_sp_op_CI_CI_sbrr_dirReg
		.amdhsa_group_segment_fixed_size 0
		.amdhsa_private_segment_fixed_size 0
		.amdhsa_kernarg_size 104
		.amdhsa_user_sgpr_count 6
		.amdhsa_user_sgpr_private_segment_buffer 1
		.amdhsa_user_sgpr_dispatch_ptr 0
		.amdhsa_user_sgpr_queue_ptr 0
		.amdhsa_user_sgpr_kernarg_segment_ptr 1
		.amdhsa_user_sgpr_dispatch_id 0
		.amdhsa_user_sgpr_flat_scratch_init 0
		.amdhsa_user_sgpr_private_segment_size 0
		.amdhsa_wavefront_size32 1
		.amdhsa_uses_dynamic_stack 0
		.amdhsa_system_sgpr_private_segment_wavefront_offset 0
		.amdhsa_system_sgpr_workgroup_id_x 1
		.amdhsa_system_sgpr_workgroup_id_y 0
		.amdhsa_system_sgpr_workgroup_id_z 0
		.amdhsa_system_sgpr_workgroup_info 0
		.amdhsa_system_vgpr_workitem_id 0
		.amdhsa_next_free_vgpr 62
		.amdhsa_next_free_sgpr 31
		.amdhsa_reserve_vcc 1
		.amdhsa_reserve_flat_scratch 0
		.amdhsa_float_round_mode_32 0
		.amdhsa_float_round_mode_16_64 0
		.amdhsa_float_denorm_mode_32 3
		.amdhsa_float_denorm_mode_16_64 3
		.amdhsa_dx10_clamp 1
		.amdhsa_ieee_mode 1
		.amdhsa_fp16_overflow 0
		.amdhsa_workgroup_processor_mode 1
		.amdhsa_memory_ordered 1
		.amdhsa_forward_progress 0
		.amdhsa_shared_vgpr_count 0
		.amdhsa_exception_fp_ieee_invalid_op 0
		.amdhsa_exception_fp_denorm_src 0
		.amdhsa_exception_fp_ieee_div_zero 0
		.amdhsa_exception_fp_ieee_overflow 0
		.amdhsa_exception_fp_ieee_underflow 0
		.amdhsa_exception_fp_ieee_inexact 0
		.amdhsa_exception_int_div_zero 0
	.end_amdhsa_kernel
	.text
.Lfunc_end0:
	.size	fft_rtc_back_len728_factors_13_7_8_wgs_104_tpt_104_halfLds_sp_op_CI_CI_sbrr_dirReg, .Lfunc_end0-fft_rtc_back_len728_factors_13_7_8_wgs_104_tpt_104_halfLds_sp_op_CI_CI_sbrr_dirReg
                                        ; -- End function
	.section	.AMDGPU.csdata,"",@progbits
; Kernel info:
; codeLenInByte = 7228
; NumSgprs: 33
; NumVgprs: 62
; ScratchSize: 0
; MemoryBound: 0
; FloatMode: 240
; IeeeMode: 1
; LDSByteSize: 0 bytes/workgroup (compile time only)
; SGPRBlocks: 4
; VGPRBlocks: 7
; NumSGPRsForWavesPerEU: 33
; NumVGPRsForWavesPerEU: 62
; Occupancy: 16
; WaveLimiterHint : 1
; COMPUTE_PGM_RSRC2:SCRATCH_EN: 0
; COMPUTE_PGM_RSRC2:USER_SGPR: 6
; COMPUTE_PGM_RSRC2:TRAP_HANDLER: 0
; COMPUTE_PGM_RSRC2:TGID_X_EN: 1
; COMPUTE_PGM_RSRC2:TGID_Y_EN: 0
; COMPUTE_PGM_RSRC2:TGID_Z_EN: 0
; COMPUTE_PGM_RSRC2:TIDIG_COMP_CNT: 0
	.text
	.p2alignl 6, 3214868480
	.fill 48, 4, 3214868480
	.type	__hip_cuid_1bcf83d41b09fd,@object ; @__hip_cuid_1bcf83d41b09fd
	.section	.bss,"aw",@nobits
	.globl	__hip_cuid_1bcf83d41b09fd
__hip_cuid_1bcf83d41b09fd:
	.byte	0                               ; 0x0
	.size	__hip_cuid_1bcf83d41b09fd, 1

	.ident	"AMD clang version 19.0.0git (https://github.com/RadeonOpenCompute/llvm-project roc-6.4.0 25133 c7fe45cf4b819c5991fe208aaa96edf142730f1d)"
	.section	".note.GNU-stack","",@progbits
	.addrsig
	.addrsig_sym __hip_cuid_1bcf83d41b09fd
	.amdgpu_metadata
---
amdhsa.kernels:
  - .args:
      - .actual_access:  read_only
        .address_space:  global
        .offset:         0
        .size:           8
        .value_kind:     global_buffer
      - .offset:         8
        .size:           8
        .value_kind:     by_value
      - .actual_access:  read_only
        .address_space:  global
        .offset:         16
        .size:           8
        .value_kind:     global_buffer
      - .actual_access:  read_only
        .address_space:  global
        .offset:         24
        .size:           8
        .value_kind:     global_buffer
      - .actual_access:  read_only
        .address_space:  global
        .offset:         32
        .size:           8
        .value_kind:     global_buffer
      - .offset:         40
        .size:           8
        .value_kind:     by_value
      - .actual_access:  read_only
        .address_space:  global
        .offset:         48
        .size:           8
        .value_kind:     global_buffer
      - .actual_access:  read_only
        .address_space:  global
        .offset:         56
        .size:           8
        .value_kind:     global_buffer
      - .offset:         64
        .size:           4
        .value_kind:     by_value
      - .actual_access:  read_only
        .address_space:  global
        .offset:         72
        .size:           8
        .value_kind:     global_buffer
      - .actual_access:  read_only
        .address_space:  global
        .offset:         80
        .size:           8
        .value_kind:     global_buffer
      - .actual_access:  read_only
        .address_space:  global
        .offset:         88
        .size:           8
        .value_kind:     global_buffer
      - .actual_access:  write_only
        .address_space:  global
        .offset:         96
        .size:           8
        .value_kind:     global_buffer
    .group_segment_fixed_size: 0
    .kernarg_segment_align: 8
    .kernarg_segment_size: 104
    .language:       OpenCL C
    .language_version:
      - 2
      - 0
    .max_flat_workgroup_size: 104
    .name:           fft_rtc_back_len728_factors_13_7_8_wgs_104_tpt_104_halfLds_sp_op_CI_CI_sbrr_dirReg
    .private_segment_fixed_size: 0
    .sgpr_count:     33
    .sgpr_spill_count: 0
    .symbol:         fft_rtc_back_len728_factors_13_7_8_wgs_104_tpt_104_halfLds_sp_op_CI_CI_sbrr_dirReg.kd
    .uniform_work_group_size: 1
    .uses_dynamic_stack: false
    .vgpr_count:     62
    .vgpr_spill_count: 0
    .wavefront_size: 32
    .workgroup_processor_mode: 1
amdhsa.target:   amdgcn-amd-amdhsa--gfx1030
amdhsa.version:
  - 1
  - 2
...

	.end_amdgpu_metadata
